;; amdgpu-corpus repo=ROCm/rocFFT kind=compiled arch=gfx1030 opt=O3
	.text
	.amdgcn_target "amdgcn-amd-amdhsa--gfx1030"
	.amdhsa_code_object_version 6
	.protected	bluestein_single_fwd_len270_dim1_sp_op_CI_CI ; -- Begin function bluestein_single_fwd_len270_dim1_sp_op_CI_CI
	.globl	bluestein_single_fwd_len270_dim1_sp_op_CI_CI
	.p2align	8
	.type	bluestein_single_fwd_len270_dim1_sp_op_CI_CI,@function
bluestein_single_fwd_len270_dim1_sp_op_CI_CI: ; @bluestein_single_fwd_len270_dim1_sp_op_CI_CI
; %bb.0:
	s_load_dwordx4 s[8:11], s[4:5], 0x28
	v_mul_u32_u24_e32 v1, 0x97c, v0
	v_mov_b32_e32 v73, 0
	s_mov_b32 s0, exec_lo
	v_lshrrev_b32_e32 v1, 16, v1
	v_lshl_add_u32 v72, s6, 2, v1
	s_waitcnt lgkmcnt(0)
	v_cmpx_gt_u64_e64 s[8:9], v[72:73]
	s_cbranch_execz .LBB0_26
; %bb.1:
	s_clause 0x1
	s_load_dwordx4 s[0:3], s[4:5], 0x18
	s_load_dwordx4 s[12:15], s[4:5], 0x0
	v_mul_lo_u16 v2, v1, 27
	v_and_b32_e32 v1, 3, v1
	v_sub_nc_u16 v0, v0, v2
	v_mul_u32_u24_e32 v1, 0x10e, v1
	v_and_b32_e32 v99, 0xffff, v0
	v_lshlrev_b32_e32 v101, 3, v1
	v_lshlrev_b32_e32 v103, 3, v99
	s_waitcnt lgkmcnt(0)
	s_load_dwordx4 s[16:19], s[0:1], 0x0
	s_clause 0x7
	global_load_dwordx2 v[91:92], v103, s[12:13]
	global_load_dwordx2 v[89:90], v103, s[12:13] offset:216
	global_load_dwordx2 v[73:74], v103, s[12:13] offset:432
	;; [unrolled: 1-line block ×7, first 2 shown]
	v_add_nc_u32_e32 v100, v101, v103
	s_waitcnt lgkmcnt(0)
	v_mad_u64_u32 v[2:3], null, s18, v72, 0
	v_mad_u64_u32 v[4:5], null, s16, v99, 0
	s_mul_i32 s0, s17, 0xd8
	s_mul_hi_u32 s1, s16, 0xd8
	s_mul_i32 s6, s16, 0xd8
	s_add_i32 s1, s1, s0
	v_mad_u64_u32 v[6:7], null, s19, v72, v[3:4]
	v_mad_u64_u32 v[7:8], null, s17, v99, v[5:6]
	v_mov_b32_e32 v3, v6
	v_lshlrev_b64 v[2:3], 3, v[2:3]
	v_mov_b32_e32 v5, v7
	v_add_co_u32 v2, vcc_lo, s10, v2
	v_lshlrev_b64 v[4:5], 3, v[4:5]
	v_add_co_ci_u32_e32 v3, vcc_lo, s11, v3, vcc_lo
	v_add_co_u32 v2, vcc_lo, v2, v4
	v_add_co_ci_u32_e32 v3, vcc_lo, v3, v5, vcc_lo
	v_add_co_u32 v4, vcc_lo, v2, s6
	v_add_co_ci_u32_e32 v5, vcc_lo, s1, v3, vcc_lo
	global_load_dwordx2 v[2:3], v[2:3], off
	v_add_co_u32 v6, vcc_lo, v4, s6
	v_add_co_ci_u32_e32 v7, vcc_lo, s1, v5, vcc_lo
	v_add_co_u32 v8, vcc_lo, v6, s6
	v_add_co_ci_u32_e32 v9, vcc_lo, s1, v7, vcc_lo
	;; [unrolled: 2-line block ×3, first 2 shown]
	s_clause 0x2
	global_load_dwordx2 v[4:5], v[4:5], off
	global_load_dwordx2 v[6:7], v[6:7], off
	;; [unrolled: 1-line block ×3, first 2 shown]
	v_add_co_u32 v12, vcc_lo, v10, s6
	v_add_co_ci_u32_e32 v13, vcc_lo, s1, v11, vcc_lo
	global_load_dwordx2 v[10:11], v[10:11], off
	v_add_co_u32 v14, vcc_lo, v12, s6
	v_add_co_ci_u32_e32 v15, vcc_lo, s1, v13, vcc_lo
	global_load_dwordx2 v[12:13], v[12:13], off
	;; [unrolled: 3-line block ×5, first 2 shown]
	s_clause 0x1
	global_load_dwordx2 v[85:86], v103, s[12:13] offset:1728
	global_load_dwordx2 v[87:88], v103, s[12:13] offset:1944
	global_load_dwordx2 v[20:21], v[20:21], off
	s_load_dwordx4 s[8:11], s[2:3], 0x0
	s_load_dwordx2 s[2:3], s[4:5], 0x38
	v_cmp_gt_u16_e32 vcc_lo, 9, v0
	s_waitcnt vmcnt(11)
	v_mul_f32_e32 v1, v3, v92
	v_mul_f32_e32 v23, v2, v92
	v_fmac_f32_e32 v1, v2, v91
	v_fma_f32 v2, v3, v91, -v23
	s_waitcnt vmcnt(10)
	v_mul_f32_e32 v22, v5, v90
	v_mul_f32_e32 v25, v4, v90
	s_waitcnt vmcnt(9)
	v_mul_f32_e32 v24, v7, v74
	s_waitcnt vmcnt(8)
	v_mul_f32_e32 v3, v9, v80
	v_fmac_f32_e32 v22, v4, v89
	v_mul_f32_e32 v4, v6, v74
	v_fma_f32 v23, v5, v89, -v25
	v_fmac_f32_e32 v24, v6, v73
	v_mul_f32_e32 v6, v8, v80
	s_waitcnt vmcnt(7)
	v_mul_f32_e32 v5, v11, v76
	v_fma_f32 v25, v7, v73, -v4
	s_waitcnt vmcnt(6)
	v_mul_f32_e32 v7, v13, v78
	v_mul_f32_e32 v26, v10, v76
	v_fmac_f32_e32 v3, v8, v79
	v_mul_f32_e32 v8, v12, v78
	v_fma_f32 v4, v9, v79, -v6
	v_fmac_f32_e32 v7, v12, v77
	v_fmac_f32_e32 v5, v10, v75
	v_fma_f32 v6, v11, v75, -v26
	s_waitcnt vmcnt(5)
	v_mul_f32_e32 v9, v15, v84
	v_mul_f32_e32 v10, v14, v84
	s_waitcnt vmcnt(4)
	v_mul_f32_e32 v12, v16, v82
	v_mul_f32_e32 v11, v17, v82
	v_fma_f32 v8, v13, v77, -v8
	v_fmac_f32_e32 v9, v14, v83
	v_fma_f32 v10, v15, v83, -v10
	v_fma_f32 v12, v17, v81, -v12
	v_mul_lo_u16 v17, v0, 10
	v_fmac_f32_e32 v11, v16, v81
	s_waitcnt vmcnt(2)
	v_mul_f32_e32 v13, v19, v86
	v_mul_f32_e32 v14, v18, v86
	s_waitcnt vmcnt(0)
	v_mul_f32_e32 v15, v21, v88
	v_mul_f32_e32 v16, v20, v88
	v_and_b32_e32 v17, 0xffff, v17
	v_fmac_f32_e32 v13, v18, v85
	v_fma_f32 v14, v19, v85, -v14
	v_fmac_f32_e32 v15, v20, v87
	v_fma_f32 v16, v21, v87, -v16
	ds_write2_b64 v100, v[1:2], v[22:23] offset1:27
	ds_write2_b64 v100, v[24:25], v[3:4] offset0:54 offset1:81
	ds_write2_b64 v100, v[5:6], v[7:8] offset0:108 offset1:135
	;; [unrolled: 1-line block ×4, first 2 shown]
	s_waitcnt lgkmcnt(0)
	s_barrier
	buffer_gl0_inv
	ds_read2_b64 v[1:4], v100 offset1:27
	ds_read2_b64 v[5:8], v100 offset0:54 offset1:81
	ds_read2_b64 v[9:12], v100 offset0:108 offset1:135
	ds_read2_b64 v[13:16], v100 offset0:162 offset1:189
	v_lshl_add_u32 v102, v17, 3, v101
	ds_read2_b64 v[17:20], v100 offset0:216 offset1:243
	s_waitcnt lgkmcnt(0)
	s_barrier
	buffer_gl0_inv
	v_add_f32_e32 v21, v1, v5
	v_add_f32_e32 v26, v2, v6
	v_sub_f32_e32 v29, v6, v10
	v_sub_f32_e32 v30, v10, v6
	v_add_f32_e32 v31, v3, v7
	v_add_f32_e32 v32, v11, v15
	v_sub_f32_e32 v35, v11, v7
	v_sub_f32_e32 v41, v6, v18
	v_add_f32_e32 v6, v6, v18
	v_sub_f32_e32 v48, v14, v18
	v_sub_f32_e32 v50, v15, v19
	v_add_f32_e32 v36, v4, v8
	v_add_f32_e32 v37, v12, v16
	v_sub_f32_e32 v39, v8, v12
	v_sub_f32_e32 v40, v12, v8
	;; [unrolled: 1-line block ×3, first 2 shown]
	v_add_f32_e32 v44, v7, v19
	v_add_f32_e32 v8, v8, v20
	;; [unrolled: 1-line block ×3, first 2 shown]
	v_sub_f32_e32 v23, v10, v14
	v_sub_f32_e32 v24, v5, v9
	;; [unrolled: 1-line block ×3, first 2 shown]
	v_add_f32_e32 v27, v10, v14
	v_sub_f32_e32 v28, v9, v13
	v_sub_f32_e32 v34, v7, v11
	;; [unrolled: 1-line block ×3, first 2 shown]
	v_add_f32_e32 v9, v21, v9
	v_add_f32_e32 v10, v26, v10
	;; [unrolled: 1-line block ×5, first 2 shown]
	v_fma_f32 v35, -0.5, v6, v2
	v_fma_f32 v6, -0.5, v32, v3
	v_sub_f32_e32 v33, v12, v16
	v_add_f32_e32 v12, v36, v12
	v_fma_f32 v3, -0.5, v44, v3
	v_fma_f32 v32, -0.5, v37, v4
	v_fmac_f32_e32 v4, -0.5, v8
	v_sub_f32_e32 v7, v7, v19
	v_sub_f32_e32 v45, v17, v13
	;; [unrolled: 1-line block ×5, first 2 shown]
	v_fma_f32 v22, -0.5, v22, v1
	v_fma_f32 v27, -0.5, v27, v2
	v_add_f32_e32 v2, v9, v13
	v_add_f32_e32 v9, v11, v15
	v_fmamk_f32 v11, v43, 0x3f737871, v6
	v_add_f32_e32 v42, v5, v17
	v_sub_f32_e32 v52, v16, v20
	v_add_f32_e32 v8, v10, v14
	v_add_f32_e32 v10, v12, v16
	v_fmamk_f32 v12, v33, 0xbf737871, v3
	v_fmac_f32_e32 v3, 0x3f737871, v33
	v_fmamk_f32 v37, v38, 0x3f737871, v4
	v_fmac_f32_e32 v4, 0xbf737871, v38
	v_sub_f32_e32 v51, v20, v16
	v_fmac_f32_e32 v6, 0xbf737871, v43
	v_fmamk_f32 v16, v7, 0xbf737871, v32
	v_fmac_f32_e32 v32, 0x3f737871, v7
	v_sub_f32_e32 v5, v5, v17
	v_add_f32_e32 v21, v24, v45
	v_add_f32_e32 v24, v25, v46
	;; [unrolled: 1-line block ×4, first 2 shown]
	v_fmamk_f32 v13, v41, 0x3f737871, v22
	v_fmac_f32_e32 v22, 0xbf737871, v41
	v_fmac_f32_e32 v11, 0x3f167918, v33
	v_fma_f32 v34, -0.5, v42, v1
	v_add_f32_e32 v1, v40, v52
	v_fmac_f32_e32 v12, 0x3f167918, v43
	v_fmac_f32_e32 v3, 0xbf167918, v43
	;; [unrolled: 1-line block ×4, first 2 shown]
	v_add_f32_e32 v31, v39, v51
	v_fmac_f32_e32 v6, 0xbf167918, v33
	v_fmac_f32_e32 v32, 0x3f167918, v38
	v_fmamk_f32 v15, v5, 0xbf737871, v27
	v_add_f32_e32 v17, v2, v17
	v_add_f32_e32 v9, v9, v19
	v_fmac_f32_e32 v13, 0x3f167918, v23
	v_fmac_f32_e32 v22, 0xbf167918, v23
	;; [unrolled: 1-line block ×4, first 2 shown]
	v_fmamk_f32 v14, v23, 0xbf737871, v34
	v_fmac_f32_e32 v34, 0x3f737871, v23
	v_fmamk_f32 v36, v28, 0x3f737871, v35
	v_fmac_f32_e32 v35, 0xbf737871, v28
	v_add_f32_e32 v8, v8, v18
	v_add_f32_e32 v10, v10, v20
	v_fmac_f32_e32 v12, 0x3e9e377a, v30
	v_fmac_f32_e32 v3, 0x3e9e377a, v30
	;; [unrolled: 1-line block ×11, first 2 shown]
	v_add_f32_e32 v1, v17, v9
	v_sub_f32_e32 v7, v17, v9
	v_mul_f32_e32 v17, 0x3f4f1bbd, v11
	v_mul_f32_e32 v21, 0xbf167918, v11
	v_fmac_f32_e32 v14, 0x3f167918, v41
	v_fmac_f32_e32 v34, 0xbf167918, v41
	;; [unrolled: 1-line block ×4, first 2 shown]
	v_add_f32_e32 v2, v8, v10
	v_sub_f32_e32 v8, v8, v10
	v_mul_f32_e32 v5, 0x3e9e377a, v3
	v_mul_f32_e32 v19, 0x3f737871, v37
	;; [unrolled: 1-line block ×4, first 2 shown]
	v_fmac_f32_e32 v27, 0x3f167918, v28
	v_mul_f32_e32 v9, 0x3f4f1bbd, v6
	v_mul_f32_e32 v11, 0x3f4f1bbd, v32
	v_fmac_f32_e32 v15, 0x3e9e377a, v25
	v_fmac_f32_e32 v17, 0x3f167918, v16
	;; [unrolled: 1-line block ×7, first 2 shown]
	v_fma_f32 v24, 0x3f737871, v4, -v5
	v_fmac_f32_e32 v19, 0x3e9e377a, v12
	v_fmac_f32_e32 v23, 0x3e9e377a, v37
	v_fma_f32 v26, 0xbf737871, v3, -v10
	v_fmac_f32_e32 v27, 0x3e9e377a, v25
	v_fma_f32 v25, 0x3f167918, v32, -v9
	v_fma_f32 v28, 0xbf167918, v6, -v11
	v_add_f32_e32 v3, v13, v17
	v_add_f32_e32 v4, v15, v21
	;; [unrolled: 1-line block ×8, first 2 shown]
	v_sub_f32_e32 v18, v13, v17
	v_sub_f32_e32 v20, v14, v19
	;; [unrolled: 1-line block ×8, first 2 shown]
	ds_write_b128 v102, v[1:4]
	ds_write_b128 v102, v[9:12] offset:16
	ds_write_b128 v102, v[5:8] offset:32
	;; [unrolled: 1-line block ×4, first 2 shown]
	s_waitcnt lgkmcnt(0)
	s_barrier
	buffer_gl0_inv
	ds_read2_b64 v[18:21], v100 offset1:27
	ds_read2_b64 v[22:25], v100 offset0:54 offset1:90
	ds_read2_b64 v[26:29], v100 offset0:180 offset1:207
	;; [unrolled: 1-line block ×3, first 2 shown]
	ds_read_b64 v[40:41], v100 offset:1872
                                        ; implicit-def: $vgpr32
                                        ; implicit-def: $vgpr38
	s_and_saveexec_b32 s0, vcc_lo
	s_cbranch_execz .LBB0_3
; %bb.2:
	ds_read2_b64 v[30:33], v100 offset0:81 offset1:171
	ds_read_b64 v[38:39], v100 offset:2088
	s_waitcnt lgkmcnt(1)
	v_mov_b32_e32 v16, v30
	v_mov_b32_e32 v17, v31
.LBB0_3:
	s_or_b32 exec_lo, exec_lo, s0
	v_and_b32_e32 v0, 0xff, v99
	v_add_co_u32 v93, s0, v99, 54
	v_add_co_ci_u32_e64 v94, null, 0, 0, s0
	v_mul_lo_u16 v0, 0xcd, v0
	v_and_b32_e32 v30, 0xff, v93
	v_add_co_u32 v95, s0, v99, 27
	v_add_co_ci_u32_e64 v96, null, 0, 0, s0
	v_lshrrev_b16 v42, 11, v0
	v_mul_lo_u16 v0, 0xcd, v30
	v_add_co_u32 v111, s0, 0x51, v99
	v_and_b32_e32 v2, 0xff, v95
	v_mul_lo_u16 v1, v42, 10
	v_lshrrev_b16 v43, 11, v0
	v_and_b32_e32 v31, 0xff, v111
	v_mov_b32_e32 v48, 30
	v_mul_lo_u16 v0, 0xcd, v2
	v_sub_nc_u16 v44, v99, v1
	v_mul_lo_u16 v1, v43, 10
	v_mul_lo_u16 v2, 0xcd, v31
	v_mul_u32_u24_sdwa v43, v43, v48 dst_sel:DWORD dst_unused:UNUSED_PAD src0_sel:WORD_0 src1_sel:DWORD
	v_lshrrev_b16 v45, 11, v0
	v_lshlrev_b16 v3, 1, v44
	v_sub_nc_u16 v46, v93, v1
	v_lshrrev_b16 v1, 11, v2
	v_mov_b32_e32 v0, 4
	v_mul_lo_u16 v2, v45, 10
	v_and_b32_e32 v3, 0xfe, v3
	v_mul_lo_u16 v45, v45, 30
	v_mul_lo_u16 v1, v1, 10
	v_lshlrev_b32_sdwa v4, v0, v46 dst_sel:DWORD dst_unused:UNUSED_PAD src0_sel:DWORD src1_sel:BYTE_0
	v_sub_nc_u16 v47, v95, v2
	v_lshlrev_b32_e32 v2, 3, v3
	v_mad_u16 v42, v42, 30, v44
	v_sub_nc_u16 v52, v111, v1
	global_load_dwordx4 v[4:7], v4, s[14:15]
	v_lshlrev_b32_sdwa v0, v0, v47 dst_sel:DWORD dst_unused:UNUSED_PAD src0_sel:DWORD src1_sel:BYTE_0
	s_clause 0x1
	global_load_dwordx4 v[12:15], v2, s[14:15]
	global_load_dwordx4 v[8:11], v0, s[14:15]
	v_lshlrev_b16 v0, 1, v52
	v_and_b32_e32 v44, 0xfe, v45
	v_and_b32_e32 v42, 0xff, v42
	v_add_nc_u32_sdwa v43, v43, v46 dst_sel:DWORD dst_unused:UNUSED_PAD src0_sel:DWORD src1_sel:BYTE_0
	v_add_co_ci_u32_e64 v112, null, 0, 0, s0
	v_and_b32_e32 v0, 0xfe, v0
	v_add_nc_u32_sdwa v44, v44, v47 dst_sel:DWORD dst_unused:UNUSED_PAD src0_sel:DWORD src1_sel:BYTE_0
	v_lshl_add_u32 v107, v42, 3, v101
	v_lshl_add_u32 v105, v43, 3, v101
	v_and_b32_e32 v108, 0xff, v52
	v_lshlrev_b32_e32 v0, 3, v0
	v_lshl_add_u32 v106, v44, 3, v101
	global_load_dwordx4 v[0:3], v0, s[14:15]
	s_waitcnt vmcnt(0) lgkmcnt(0)
	s_barrier
	buffer_gl0_inv
	v_mul_f32_e32 v42, v37, v5
	v_mul_f32_e32 v43, v36, v5
	;; [unrolled: 1-line block ×9, first 2 shown]
	v_fma_f32 v36, v36, v4, -v42
	v_fmac_f32_e32 v43, v37, v4
	v_fma_f32 v37, v40, v6, -v44
	v_mul_f32_e32 v48, v27, v15
	v_mul_f32_e32 v51, v34, v9
	;; [unrolled: 1-line block ×3, first 2 shown]
	v_fmac_f32_e32 v45, v41, v6
	v_fma_f32 v24, v24, v12, -v46
	v_fmac_f32_e32 v47, v25, v12
	v_fmac_f32_e32 v49, v27, v14
	v_fma_f32 v25, v34, v8, -v50
	v_fmac_f32_e32 v54, v29, v10
	v_add_f32_e32 v41, v36, v37
	v_mul_f32_e32 v27, v33, v1
	v_mul_f32_e32 v34, v32, v1
	;; [unrolled: 1-line block ×4, first 2 shown]
	v_fma_f32 v26, v26, v14, -v48
	v_fmac_f32_e32 v51, v35, v8
	v_fma_f32 v28, v28, v10, -v53
	v_add_f32_e32 v35, v22, v36
	v_sub_f32_e32 v42, v43, v45
	v_add_f32_e32 v44, v23, v43
	v_fma_f32 v46, v32, v0, -v27
	v_fmac_f32_e32 v34, v33, v0
	v_fma_f32 v38, v38, v2, -v29
	v_fmac_f32_e32 v40, v39, v2
	v_add_f32_e32 v27, v18, v24
	v_add_f32_e32 v32, v19, v47
	v_fma_f32 v22, -0.5, v41, v22
	v_add_f32_e32 v43, v43, v45
	v_add_f32_e32 v29, v24, v26
	v_sub_f32_e32 v39, v47, v49
	v_add_f32_e32 v33, v47, v49
	v_sub_f32_e32 v47, v24, v26
	v_add_f32_e32 v48, v20, v25
	v_add_f32_e32 v50, v25, v28
	v_sub_f32_e32 v53, v51, v54
	v_add_f32_e32 v55, v21, v51
	;; [unrolled: 3-line block ×3, first 2 shown]
	v_add_f32_e32 v26, v27, v26
	v_add_f32_e32 v27, v32, v49
	v_fmamk_f32 v32, v42, 0x3f5db3d7, v22
	v_fmac_f32_e32 v22, 0xbf5db3d7, v42
	v_add_f32_e32 v42, v46, v38
	v_add_f32_e32 v45, v34, v40
	v_sub_f32_e32 v36, v36, v37
	v_fmac_f32_e32 v23, -0.5, v43
	v_fma_f32 v18, -0.5, v29, v18
	v_fma_f32 v19, -0.5, v33, v19
	;; [unrolled: 1-line block ×3, first 2 shown]
	v_fmac_f32_e32 v21, -0.5, v51
	v_add_f32_e32 v41, v16, v46
	v_sub_f32_e32 v43, v34, v40
	v_add_f32_e32 v44, v17, v34
	v_sub_f32_e32 v46, v46, v38
	v_fmac_f32_e32 v16, -0.5, v42
	v_fmac_f32_e32 v17, -0.5, v45
	v_add_f32_e32 v24, v35, v37
	v_add_f32_e32 v28, v48, v28
	;; [unrolled: 1-line block ×3, first 2 shown]
	v_fmamk_f32 v33, v36, 0xbf5db3d7, v23
	v_fmac_f32_e32 v23, 0x3f5db3d7, v36
	v_fmamk_f32 v34, v39, 0x3f5db3d7, v18
	v_fmamk_f32 v35, v47, 0xbf5db3d7, v19
	;; [unrolled: 1-line block ×4, first 2 shown]
	v_add_f32_e32 v48, v41, v38
	v_add_f32_e32 v49, v44, v40
	v_fmamk_f32 v50, v43, 0x3f5db3d7, v16
	v_fmac_f32_e32 v16, 0xbf5db3d7, v43
	v_fmamk_f32 v51, v46, 0xbf5db3d7, v17
	v_fmac_f32_e32 v17, 0x3f5db3d7, v46
	v_fmac_f32_e32 v18, 0xbf5db3d7, v39
	;; [unrolled: 1-line block ×5, first 2 shown]
	ds_write2_b64 v107, v[26:27], v[34:35] offset1:10
	ds_write_b64 v107, v[18:19] offset:160
	ds_write2_b64 v106, v[28:29], v[36:37] offset1:10
	ds_write_b64 v106, v[20:21] offset:160
	;; [unrolled: 2-line block ×3, first 2 shown]
	s_and_saveexec_b32 s0, vcc_lo
	s_cbranch_execz .LBB0_5
; %bb.4:
	v_lshl_add_u32 v18, v108, 3, v101
	ds_write2_b64 v18, v[48:49], v[50:51] offset0:240 offset1:250
	ds_write_b64 v18, v[16:17] offset:2080
.LBB0_5:
	s_or_b32 exec_lo, exec_lo, s0
	s_waitcnt lgkmcnt(0)
	s_barrier
	buffer_gl0_inv
	ds_read2_b64 v[40:43], v100 offset1:27
	ds_read2_b64 v[36:39], v100 offset0:54 offset1:90
	ds_read2_b64 v[44:47], v100 offset0:180 offset1:207
	;; [unrolled: 1-line block ×3, first 2 shown]
	ds_read_b64 v[18:19], v100 offset:1872
	s_and_saveexec_b32 s0, vcc_lo
	s_cbranch_execz .LBB0_7
; %bb.6:
	ds_read2_b64 v[48:51], v100 offset0:81 offset1:171
	ds_read_b64 v[16:17], v100 offset:2088
.LBB0_7:
	s_or_b32 exec_lo, exec_lo, s0
	v_add_co_u32 v20, s0, v99, -3
	v_mul_lo_u16 v22, 0x89, v30
	v_add_co_ci_u32_e64 v21, null, 0, -1, s0
	v_cmp_gt_u16_e64 s0, 3, v99
	v_lshlrev_b32_e32 v58, 4, v99
	v_lshrrev_b16 v59, 12, v22
	v_mul_lo_u16 v22, 0x89, v31
	v_mov_b32_e32 v28, 4
	v_cndmask_b32_e64 v57, v21, v96, s0
	v_cndmask_b32_e64 v56, v20, v95, s0
	v_mul_lo_u16 v23, v59, 30
	v_lshrrev_b16 v22, 12, v22
	global_load_dwordx4 v[24:27], v58, s[14:15] offset:160
	v_mov_b32_e32 v60, 0x5a
	v_lshlrev_b64 v[20:21], 4, v[56:57]
	v_sub_nc_u16 v57, v93, v23
	v_mul_lo_u16 v22, v22, 30
	v_mul_u32_u24_sdwa v59, v59, v60 dst_sel:DWORD dst_unused:UNUSED_PAD src0_sel:WORD_0 src1_sel:DWORD
	v_add_co_u32 v20, s0, s14, v20
	v_add_co_ci_u32_e64 v21, s0, s15, v21, s0
	v_lshlrev_b32_sdwa v23, v28, v57 dst_sel:DWORD dst_unused:UNUSED_PAD src0_sel:DWORD src1_sel:BYTE_0
	s_clause 0x1
	global_load_dwordx4 v[32:35], v[20:21], off offset:160
	global_load_dwordx4 v[28:31], v23, s[14:15] offset:160
	v_sub_nc_u16 v20, v111, v22
	v_cmp_lt_u16_e64 s0, 2, v99
	v_add_nc_u32_sdwa v57, v59, v57 dst_sel:DWORD dst_unused:UNUSED_PAD src0_sel:DWORD src1_sel:BYTE_0
	v_and_b32_e32 v104, 0xff, v20
	v_cndmask_b32_e64 v61, 0, 0x5a, s0
	v_add_co_u32 v97, s0, s14, v58
	v_lshl_add_u32 v109, v57, 3, v101
	v_lshlrev_b32_e32 v20, 4, v104
	v_add_nc_u32_e32 v56, v56, v61
	v_add_co_ci_u32_e64 v98, null, s15, 0, s0
	global_load_dwordx4 v[20:23], v20, s[14:15] offset:160
	v_lshl_add_u32 v110, v56, 3, v101
	s_waitcnt vmcnt(0) lgkmcnt(0)
	s_barrier
	buffer_gl0_inv
	v_mul_f32_e32 v56, v39, v25
	v_mul_f32_e32 v57, v38, v25
	;; [unrolled: 1-line block ×4, first 2 shown]
	v_fma_f32 v38, v38, v24, -v56
	v_fmac_f32_e32 v57, v39, v24
	v_fma_f32 v39, v44, v26, -v58
	v_fmac_f32_e32 v59, v45, v26
	v_add_f32_e32 v44, v40, v38
	v_add_f32_e32 v58, v41, v57
	;; [unrolled: 1-line block ×3, first 2 shown]
	v_sub_f32_e32 v56, v57, v59
	v_add_f32_e32 v57, v57, v59
	v_sub_f32_e32 v60, v38, v39
	v_add_f32_e32 v38, v44, v39
	v_fma_f32 v40, -0.5, v45, v40
	v_add_f32_e32 v39, v58, v59
	v_fma_f32 v41, -0.5, v57, v41
	v_mul_f32_e32 v58, v52, v33
	v_mul_f32_e32 v61, v46, v35
	;; [unrolled: 1-line block ×8, first 2 shown]
	v_fmamk_f32 v44, v56, 0x3f5db3d7, v40
	v_fmamk_f32 v45, v60, 0xbf5db3d7, v41
	v_fmac_f32_e32 v58, v53, v32
	v_fmac_f32_e32 v61, v47, v34
	v_fma_f32 v47, v54, v28, -v62
	v_fmac_f32_e32 v63, v55, v28
	v_fma_f32 v18, v18, v30, -v64
	v_fmac_f32_e32 v65, v19, v30
	v_mul_f32_e32 v19, v51, v21
	v_mul_f32_e32 v53, v50, v21
	;; [unrolled: 1-line block ×4, first 2 shown]
	v_fmac_f32_e32 v40, 0xbf5db3d7, v56
	v_fma_f32 v52, v52, v32, -v57
	ds_write2_b64 v100, v[38:39], v[44:45] offset1:30
	v_sub_f32_e32 v44, v58, v61
	v_add_f32_e32 v45, v43, v58
	v_add_f32_e32 v56, v58, v61
	v_fma_f32 v50, v50, v20, -v19
	v_fmac_f32_e32 v53, v51, v20
	v_fma_f32 v51, v16, v22, -v54
	v_fmac_f32_e32 v55, v17, v22
	v_add_f32_e32 v19, v36, v47
	v_add_f32_e32 v54, v47, v18
	;; [unrolled: 1-line block ×3, first 2 shown]
	v_fma_f32 v46, v46, v34, -v59
	v_add_f32_e32 v38, v42, v52
	v_sub_f32_e32 v47, v47, v18
	v_fmac_f32_e32 v43, -0.5, v56
	v_add_f32_e32 v18, v19, v18
	v_fma_f32 v36, -0.5, v54, v36
	v_add_f32_e32 v19, v58, v65
	v_add_f32_e32 v54, v50, v51
	v_sub_f32_e32 v56, v53, v55
	v_add_f32_e32 v58, v49, v53
	v_add_f32_e32 v53, v53, v55
	;; [unrolled: 1-line block ×4, first 2 shown]
	v_sub_f32_e32 v52, v52, v46
	v_add_f32_e32 v16, v38, v46
	v_add_f32_e32 v46, v48, v50
	v_sub_f32_e32 v50, v50, v51
	v_fmac_f32_e32 v48, -0.5, v54
	v_fmac_f32_e32 v49, -0.5, v53
	v_fma_f32 v42, -0.5, v39, v42
	v_sub_f32_e32 v57, v63, v65
	v_fmac_f32_e32 v37, -0.5, v59
	v_fmac_f32_e32 v41, 0x3f5db3d7, v60
	v_fmamk_f32 v39, v52, 0xbf5db3d7, v43
	v_fmac_f32_e32 v43, 0x3f5db3d7, v52
	v_add_f32_e32 v52, v46, v51
	v_add_f32_e32 v53, v58, v55
	v_fmamk_f32 v54, v56, 0x3f5db3d7, v48
	v_fmac_f32_e32 v48, 0xbf5db3d7, v56
	v_fmamk_f32 v55, v50, 0xbf5db3d7, v49
	v_fmac_f32_e32 v49, 0x3f5db3d7, v50
	v_add_f32_e32 v17, v45, v61
	v_fmamk_f32 v38, v44, 0x3f5db3d7, v42
	v_fmac_f32_e32 v42, 0xbf5db3d7, v44
	v_fmamk_f32 v44, v57, 0x3f5db3d7, v36
	v_fmamk_f32 v45, v47, 0xbf5db3d7, v37
	v_fmac_f32_e32 v36, 0xbf5db3d7, v57
	v_fmac_f32_e32 v37, 0x3f5db3d7, v47
	ds_write_b64 v100, v[40:41] offset:480
	ds_write2_b64 v110, v[16:17], v[38:39] offset1:30
	ds_write_b64 v110, v[42:43] offset:480
	ds_write2_b64 v109, v[18:19], v[44:45] offset1:30
	ds_write_b64 v109, v[36:37] offset:480
	s_and_saveexec_b32 s0, vcc_lo
	s_cbranch_execz .LBB0_9
; %bb.8:
	v_lshl_add_u32 v16, v104, 3, v101
	ds_write2_b64 v16, v[52:53], v[54:55] offset0:180 offset1:210
	ds_write_b64 v16, v[48:49] offset:1920
.LBB0_9:
	s_or_b32 exec_lo, exec_lo, s0
	s_waitcnt lgkmcnt(0)
	s_barrier
	buffer_gl0_inv
	ds_read2_b64 v[60:63], v100 offset1:27
	ds_read2_b64 v[56:59], v100 offset0:54 offset1:90
	ds_read2_b64 v[64:67], v100 offset0:180 offset1:207
	;; [unrolled: 1-line block ×3, first 2 shown]
	ds_read_b64 v[50:51], v100 offset:1872
	s_and_saveexec_b32 s0, vcc_lo
	s_cbranch_execz .LBB0_11
; %bb.10:
	ds_read2_b64 v[52:55], v100 offset0:81 offset1:171
	ds_read_b64 v[48:49], v100 offset:2088
.LBB0_11:
	s_or_b32 exec_lo, exec_lo, s0
	v_lshlrev_b64 v[16:17], 4, v[95:96]
	v_lshlrev_b64 v[18:19], 4, v[93:94]
	v_add_co_u32 v93, s0, v99, -9
	v_add_co_ci_u32_e64 v94, null, 0, -1, s0
	v_add_co_u32 v16, s0, s14, v16
	v_add_co_ci_u32_e64 v17, s0, s15, v17, s0
	v_add_co_u32 v18, s0, s14, v18
	v_add_co_ci_u32_e64 v19, s0, s15, v19, s0
	s_clause 0x2
	global_load_dwordx4 v[36:39], v[97:98], off offset:640
	global_load_dwordx4 v[44:47], v[16:17], off offset:640
	;; [unrolled: 1-line block ×3, first 2 shown]
	v_cndmask_b32_e32 v17, v94, v112, vcc_lo
	v_cndmask_b32_e32 v16, v93, v111, vcc_lo
	v_lshlrev_b64 v[16:17], 4, v[16:17]
	v_add_co_u32 v16, s0, s14, v16
	v_add_co_ci_u32_e64 v17, s0, s15, v17, s0
	global_load_dwordx4 v[16:19], v[16:17], off offset:640
	s_waitcnt vmcnt(3) lgkmcnt(3)
	v_mul_f32_e32 v94, v58, v37
	s_waitcnt lgkmcnt(2)
	v_mul_f32_e32 v96, v64, v39
	v_mul_f32_e32 v93, v59, v37
	;; [unrolled: 1-line block ×3, first 2 shown]
	s_waitcnt vmcnt(2)
	v_mul_f32_e32 v113, v66, v47
	v_fmac_f32_e32 v94, v59, v36
	v_fmac_f32_e32 v96, v65, v38
	v_fma_f32 v58, v58, v36, -v93
	v_fma_f32 v59, v64, v38, -v95
	s_waitcnt vmcnt(1) lgkmcnt(1)
	v_mul_f32_e32 v114, v71, v41
	v_add_f32_e32 v97, v61, v94
	v_sub_f32_e32 v95, v94, v96
	v_add_f32_e32 v94, v94, v96
	v_add_f32_e32 v64, v60, v58
	;; [unrolled: 1-line block ×3, first 2 shown]
	v_sub_f32_e32 v58, v58, v59
	v_mul_f32_e32 v115, v70, v41
	s_waitcnt lgkmcnt(0)
	v_mul_f32_e32 v117, v50, v43
	v_fma_f32 v61, -0.5, v94, v61
	v_mul_f32_e32 v98, v69, v45
	v_mul_f32_e32 v112, v67, v47
	;; [unrolled: 1-line block ×3, first 2 shown]
	v_add_f32_e32 v64, v64, v59
	v_fmac_f32_e32 v113, v67, v46
	v_fma_f32 v67, v70, v40, -v114
	v_fmac_f32_e32 v115, v71, v40
	v_fmac_f32_e32 v117, v51, v42
	v_fmamk_f32 v51, v58, 0xbf5db3d7, v61
	v_fmac_f32_e32 v61, 0x3f5db3d7, v58
	s_waitcnt vmcnt(0)
	v_mul_f32_e32 v70, v55, v17
	v_mul_f32_e32 v59, v54, v17
	;; [unrolled: 1-line block ×5, first 2 shown]
	v_fma_f32 v60, -0.5, v65, v60
	v_fma_f32 v68, v68, v44, -v98
	v_fma_f32 v66, v66, v46, -v112
	;; [unrolled: 1-line block ×3, first 2 shown]
	v_fmac_f32_e32 v59, v55, v16
	v_fma_f32 v55, v48, v18, -v71
	v_fmac_f32_e32 v58, v49, v18
	v_fmac_f32_e32 v111, v69, v44
	v_fma_f32 v69, v50, v42, -v116
	v_lshl_add_u32 v93, v99, 3, v101
	v_fmamk_f32 v50, v95, 0x3f5db3d7, v60
	v_fmac_f32_e32 v60, 0xbf5db3d7, v95
	v_add_f32_e32 v94, v62, v68
	v_add_f32_e32 v95, v68, v66
	;; [unrolled: 1-line block ×6, first 2 shown]
	v_sub_f32_e32 v114, v115, v117
	v_add_f32_e32 v116, v57, v115
	v_add_f32_e32 v115, v115, v117
	;; [unrolled: 1-line block ×4, first 2 shown]
	ds_write_b64 v93, v[50:51] offset:720
	ds_write_b64 v93, v[60:61] offset:1440
	v_add_f32_e32 v60, v94, v66
	v_fma_f32 v62, -0.5, v95, v62
	v_sub_f32_e32 v94, v59, v58
	v_fma_f32 v50, -0.5, v48, v52
	v_sub_f32_e32 v95, v54, v55
	;; [unrolled: 2-line block ×3, first 2 shown]
	v_sub_f32_e32 v111, v68, v66
	v_add_f32_e32 v68, v56, v67
	v_fmac_f32_e32 v63, -0.5, v98
	v_sub_f32_e32 v118, v67, v69
	v_fma_f32 v56, -0.5, v112, v56
	v_fmac_f32_e32 v57, -0.5, v115
	v_add_f32_e32 v61, v97, v113
	v_fmamk_f32 v48, v94, 0x3f5db3d7, v50
	v_fmac_f32_e32 v50, 0xbf5db3d7, v94
	v_fmamk_f32 v49, v95, 0xbf5db3d7, v51
	v_fmac_f32_e32 v51, 0x3f5db3d7, v95
	v_add_f32_e32 v66, v68, v69
	v_fmamk_f32 v68, v96, 0x3f5db3d7, v62
	v_fmamk_f32 v69, v111, 0xbf5db3d7, v63
	v_fmac_f32_e32 v62, 0xbf5db3d7, v96
	v_fmac_f32_e32 v63, 0x3f5db3d7, v111
	v_add_f32_e32 v67, v116, v117
	v_fmamk_f32 v70, v114, 0x3f5db3d7, v56
	v_fmac_f32_e32 v56, 0xbf5db3d7, v114
	v_fmamk_f32 v71, v118, 0xbf5db3d7, v57
	v_fmac_f32_e32 v57, 0x3f5db3d7, v118
	ds_write2_b64 v100, v[64:65], v[60:61] offset1:27
	ds_write_b64 v93, v[68:69] offset:936
	ds_write_b64 v93, v[62:63] offset:1656
	;; [unrolled: 1-line block ×3, first 2 shown]
	ds_write2_b64 v100, v[70:71], v[56:57] offset0:144 offset1:234
	s_and_saveexec_b32 s0, vcc_lo
	s_cbranch_execz .LBB0_13
; %bb.12:
	v_add_f32_e32 v53, v53, v59
	v_add_f32_e32 v52, v52, v54
	v_add_nc_u32_e32 v54, 0x400, v93
	v_add_f32_e32 v53, v53, v58
	v_add_f32_e32 v52, v52, v55
	ds_write_b64 v100, v[52:53] offset:648
	ds_write2_b64 v54, v[48:49], v[50:51] offset0:43 offset1:133
.LBB0_13:
	s_or_b32 exec_lo, exec_lo, s0
	v_add_co_u32 v54, s0, s12, v103
	v_add_co_ci_u32_e64 v55, null, s13, 0, s0
	s_waitcnt lgkmcnt(0)
	v_add_co_u32 v52, s0, 0x800, v54
	v_add_co_ci_u32_e64 v53, s0, 0, v55, s0
	v_add_co_u32 v54, s0, 0x870, v54
	v_add_co_ci_u32_e64 v55, s0, 0, v55, s0
	s_barrier
	buffer_gl0_inv
	s_clause 0x9
	global_load_dwordx2 v[68:69], v[52:53], off offset:112
	global_load_dwordx2 v[70:71], v[54:55], off offset:216
	;; [unrolled: 1-line block ×10, first 2 shown]
	ds_read2_b64 v[52:55], v100 offset1:27
	ds_read2_b64 v[56:59], v100 offset0:54 offset1:108
	ds_read_b64 v[123:124], v93 offset:648
	ds_read2_b64 v[60:63], v100 offset0:135 offset1:162
	ds_read2_b64 v[64:67], v100 offset0:189 offset1:216
	ds_read_b64 v[125:126], v100 offset:1944
	s_waitcnt vmcnt(9) lgkmcnt(5)
	v_mul_f32_e32 v103, v53, v69
	v_mul_f32_e32 v98, v52, v69
	s_waitcnt vmcnt(8)
	v_mul_f32_e32 v127, v55, v71
	v_mul_f32_e32 v69, v54, v71
	s_waitcnt vmcnt(7) lgkmcnt(4)
	v_mul_f32_e32 v129, v57, v95
	v_mul_f32_e32 v71, v56, v95
	s_waitcnt vmcnt(6) lgkmcnt(3)
	v_mul_f32_e32 v130, v124, v97
	v_mul_f32_e32 v95, v123, v97
	s_waitcnt vmcnt(5)
	v_mul_f32_e32 v131, v59, v112
	v_mul_f32_e32 v128, v58, v112
	s_waitcnt vmcnt(4) lgkmcnt(2)
	v_mul_f32_e32 v132, v61, v114
	v_mul_f32_e32 v112, v60, v114
	s_waitcnt vmcnt(3)
	;; [unrolled: 6-line block ×3, first 2 shown]
	v_mul_f32_e32 v135, v67, v120
	v_mul_f32_e32 v118, v66, v120
	s_waitcnt vmcnt(0) lgkmcnt(0)
	v_mul_f32_e32 v136, v126, v122
	v_mul_f32_e32 v120, v125, v122
	v_fma_f32 v97, v52, v68, -v103
	v_fmac_f32_e32 v98, v53, v68
	v_fma_f32 v68, v54, v70, -v127
	v_fmac_f32_e32 v69, v55, v70
	;; [unrolled: 2-line block ×10, first 2 shown]
	ds_write2_b64 v100, v[97:98], v[68:69] offset1:27
	ds_write_b64 v93, v[94:95] offset:648
	ds_write2_b64 v100, v[70:71], v[127:128] offset0:54 offset1:108
	ds_write2_b64 v100, v[111:112], v[113:114] offset0:135 offset1:162
	;; [unrolled: 1-line block ×3, first 2 shown]
	ds_write_b64 v100, v[119:120] offset:1944
	s_waitcnt lgkmcnt(0)
	s_barrier
	buffer_gl0_inv
	ds_read2_b64 v[52:55], v100 offset1:27
	ds_read2_b64 v[56:59], v100 offset0:54 offset1:108
	ds_read2_b64 v[60:63], v100 offset0:135 offset1:162
	;; [unrolled: 1-line block ×3, first 2 shown]
	ds_read_b64 v[68:69], v93 offset:648
	ds_read_b64 v[70:71], v100 offset:1944
	s_waitcnt lgkmcnt(0)
	s_barrier
	buffer_gl0_inv
	v_add_f32_e32 v94, v52, v56
	v_add_f32_e32 v95, v58, v62
	v_sub_f32_e32 v98, v56, v58
	v_sub_f32_e32 v103, v66, v62
	;; [unrolled: 1-line block ×4, first 2 shown]
	v_add_f32_e32 v115, v59, v63
	v_add_f32_e32 v121, v54, v68
	;; [unrolled: 1-line block ×6, first 2 shown]
	v_sub_f32_e32 v116, v58, v62
	v_sub_f32_e32 v123, v69, v71
	v_sub_f32_e32 v124, v61, v65
	v_sub_f32_e32 v125, v68, v60
	v_add_f32_e32 v127, v68, v70
	v_sub_f32_e32 v128, v60, v68
	v_sub_f32_e32 v68, v68, v70
	;; [unrolled: 1-line block ×5, first 2 shown]
	v_add_f32_e32 v58, v94, v58
	v_fma_f32 v94, -0.5, v95, v52
	v_add_f32_e32 v95, v98, v103
	v_add_f32_e32 v98, v112, v113
	v_fma_f32 v103, -0.5, v115, v53
	v_add_f32_e32 v60, v121, v60
	v_fma_f32 v112, -0.5, v122, v54
	v_add_f32_e32 v61, v130, v61
	v_fma_f32 v115, -0.5, v131, v55
	v_sub_f32_e32 v126, v70, v64
	v_fmac_f32_e32 v55, -0.5, v135
	v_add_f32_e32 v111, v56, v66
	v_sub_f32_e32 v117, v57, v59
	v_sub_f32_e32 v118, v67, v63
	;; [unrolled: 1-line block ×5, first 2 shown]
	v_add_f32_e32 v60, v60, v64
	v_fmamk_f32 v64, v123, 0xbf737871, v112
	v_add_f32_e32 v61, v61, v65
	v_fmamk_f32 v65, v68, 0x3f737871, v115
	v_add_f32_e32 v119, v57, v67
	v_add_f32_e32 v113, v125, v126
	v_fma_f32 v54, -0.5, v127, v54
	v_fmamk_f32 v125, v132, 0xbf737871, v55
	v_fmac_f32_e32 v55, 0x3f737871, v132
	v_sub_f32_e32 v96, v57, v67
	v_sub_f32_e32 v97, v59, v63
	v_fma_f32 v52, -0.5, v111, v52
	v_fmac_f32_e32 v115, 0xbf737871, v68
	v_add_f32_e32 v114, v53, v57
	v_sub_f32_e32 v56, v56, v66
	v_sub_f32_e32 v57, v59, v57
	;; [unrolled: 1-line block ×3, first 2 shown]
	v_add_f32_e32 v111, v117, v118
	v_add_f32_e32 v117, v133, v134
	v_fmac_f32_e32 v64, 0xbf167918, v124
	v_fmac_f32_e32 v65, 0x3f167918, v132
	v_fma_f32 v53, -0.5, v119, v53
	v_add_f32_e32 v69, v69, v136
	v_fmamk_f32 v122, v124, 0x3f737871, v54
	v_fmac_f32_e32 v54, 0xbf737871, v124
	v_fmac_f32_e32 v125, 0x3f167918, v68
	;; [unrolled: 1-line block ×3, first 2 shown]
	v_fmamk_f32 v118, v96, 0xbf737871, v94
	v_fmac_f32_e32 v94, 0x3f737871, v96
	v_fmamk_f32 v119, v97, 0x3f737871, v52
	v_fmac_f32_e32 v52, 0xbf737871, v97
	v_fmac_f32_e32 v112, 0x3f737871, v123
	;; [unrolled: 1-line block ×3, first 2 shown]
	v_add_f32_e32 v59, v114, v59
	v_add_f32_e32 v57, v57, v120
	v_fmamk_f32 v120, v56, 0x3f737871, v103
	v_fmac_f32_e32 v64, 0x3e9e377a, v113
	v_fmac_f32_e32 v65, 0x3e9e377a, v117
	v_add_f32_e32 v114, v128, v129
	v_fmamk_f32 v121, v116, 0xbf737871, v53
	v_fmac_f32_e32 v53, 0x3f737871, v116
	v_fmac_f32_e32 v122, 0xbf167918, v123
	;; [unrolled: 1-line block ×12, first 2 shown]
	v_add_f32_e32 v58, v58, v62
	v_add_f32_e32 v59, v59, v63
	v_fmac_f32_e32 v120, 0x3f167918, v116
	v_mul_f32_e32 v68, 0xbf167918, v65
	v_mul_f32_e32 v96, 0x3f167918, v64
	v_fmac_f32_e32 v121, 0x3f167918, v56
	v_fmac_f32_e32 v53, 0xbf167918, v56
	v_add_f32_e32 v61, v61, v71
	v_fmac_f32_e32 v122, 0x3e9e377a, v114
	v_fmac_f32_e32 v54, 0x3e9e377a, v114
	v_mul_f32_e32 v69, 0xbf737871, v125
	v_mul_f32_e32 v71, 0xbf737871, v55
	;; [unrolled: 1-line block ×4, first 2 shown]
	v_fmac_f32_e32 v103, 0xbf167918, v116
	v_fmac_f32_e32 v118, 0x3e9e377a, v95
	;; [unrolled: 1-line block ×6, first 2 shown]
	v_mul_f32_e32 v95, 0xbf167918, v115
	v_mul_f32_e32 v98, 0xbf4f1bbd, v115
	v_add_f32_e32 v58, v58, v66
	v_add_f32_e32 v59, v59, v67
	;; [unrolled: 1-line block ×3, first 2 shown]
	v_fmac_f32_e32 v120, 0x3e9e377a, v111
	v_fmac_f32_e32 v68, 0x3f4f1bbd, v64
	;; [unrolled: 1-line block ×12, first 2 shown]
	v_add_f32_e32 v56, v58, v60
	v_add_f32_e32 v57, v59, v61
	v_sub_f32_e32 v62, v58, v60
	v_sub_f32_e32 v63, v59, v61
	v_add_f32_e32 v58, v118, v68
	v_add_f32_e32 v59, v120, v96
	;; [unrolled: 1-line block ×8, first 2 shown]
	v_sub_f32_e32 v68, v118, v68
	v_sub_f32_e32 v70, v119, v69
	;; [unrolled: 1-line block ×8, first 2 shown]
	ds_write_b128 v102, v[56:59]
	ds_write_b128 v102, v[64:67] offset:16
	ds_write_b128 v102, v[60:63] offset:32
	;; [unrolled: 1-line block ×4, first 2 shown]
	s_waitcnt lgkmcnt(0)
	s_barrier
	buffer_gl0_inv
	ds_read2_b64 v[60:63], v100 offset1:27
	ds_read2_b64 v[56:59], v100 offset0:54 offset1:90
	ds_read2_b64 v[68:71], v100 offset0:180 offset1:207
	ds_read2_b64 v[64:67], v100 offset0:117 offset1:144
	ds_read_b64 v[52:53], v100 offset:1872
	s_and_saveexec_b32 s0, vcc_lo
	s_cbranch_execz .LBB0_15
; %bb.14:
	v_add_nc_u32_e32 v48, 0x400, v100
	ds_read_b64 v[54:55], v93 offset:648
	ds_read2_b64 v[48:51], v48 offset0:43 offset1:133
.LBB0_15:
	s_or_b32 exec_lo, exec_lo, s0
	s_waitcnt lgkmcnt(3)
	v_mul_f32_e32 v94, v13, v59
	v_mul_f32_e32 v13, v13, v58
	s_waitcnt lgkmcnt(2)
	v_mul_f32_e32 v95, v15, v69
	v_mul_f32_e32 v15, v15, v68
	s_waitcnt lgkmcnt(0)
	v_fmac_f32_e32 v94, v12, v58
	v_fma_f32 v12, v12, v59, -v13
	v_mul_f32_e32 v13, v9, v65
	v_mul_f32_e32 v9, v9, v64
	;; [unrolled: 1-line block ×4, first 2 shown]
	v_fmac_f32_e32 v95, v14, v68
	v_fma_f32 v14, v14, v69, -v15
	v_fma_f32 v9, v8, v65, -v9
	v_mul_f32_e32 v65, v1, v49
	v_fmac_f32_e32 v59, v6, v52
	v_mul_f32_e32 v1, v1, v48
	v_fma_f32 v52, v6, v53, -v7
	v_mul_f32_e32 v53, v3, v51
	v_mul_f32_e32 v3, v3, v50
	;; [unrolled: 1-line block ×6, first 2 shown]
	v_fmac_f32_e32 v65, v0, v48
	v_fma_f32 v48, v0, v49, -v1
	v_add_f32_e32 v0, v94, v95
	v_fmac_f32_e32 v53, v2, v50
	v_add_f32_e32 v1, v60, v94
	v_fma_f32 v3, v2, v51, -v3
	v_add_f32_e32 v2, v12, v14
	v_fmac_f32_e32 v13, v8, v64
	v_fmac_f32_e32 v15, v10, v70
	v_fma_f32 v11, v10, v71, -v11
	v_fmac_f32_e32 v58, v4, v66
	v_fma_f32 v64, v4, v67, -v5
	v_fma_f32 v0, -0.5, v0, v60
	v_sub_f32_e32 v5, v12, v14
	v_add_f32_e32 v4, v1, v95
	v_add_f32_e32 v7, v61, v12
	v_fma_f32 v1, -0.5, v2, v61
	v_sub_f32_e32 v2, v94, v95
	v_fmamk_f32 v6, v5, 0xbf5db3d7, v0
	v_fmac_f32_e32 v0, 0x3f5db3d7, v5
	v_add_f32_e32 v5, v7, v14
	v_add_f32_e32 v8, v13, v15
	v_fmamk_f32 v7, v2, 0x3f5db3d7, v1
	v_fmac_f32_e32 v1, 0xbf5db3d7, v2
	v_add_f32_e32 v2, v9, v11
	v_add_f32_e32 v10, v62, v13
	v_fma_f32 v62, -0.5, v8, v62
	v_sub_f32_e32 v12, v9, v11
	v_add_f32_e32 v9, v63, v9
	v_fmac_f32_e32 v63, -0.5, v2
	v_sub_f32_e32 v2, v13, v15
	v_add_f32_e32 v8, v10, v15
	v_fmamk_f32 v10, v12, 0xbf5db3d7, v62
	v_fmac_f32_e32 v62, 0x3f5db3d7, v12
	v_add_f32_e32 v9, v9, v11
	v_add_f32_e32 v12, v58, v59
	v_fmamk_f32 v11, v2, 0x3f5db3d7, v63
	v_add_f32_e32 v13, v56, v58
	v_fmac_f32_e32 v63, 0xbf5db3d7, v2
	v_add_f32_e32 v2, v64, v52
	v_fma_f32 v56, -0.5, v12, v56
	v_sub_f32_e32 v15, v64, v52
	v_add_f32_e32 v12, v13, v59
	v_add_f32_e32 v13, v57, v64
	v_fmac_f32_e32 v57, -0.5, v2
	v_sub_f32_e32 v2, v58, v59
	v_fmamk_f32 v14, v15, 0xbf5db3d7, v56
	v_fmac_f32_e32 v56, 0x3f5db3d7, v15
	v_add_f32_e32 v49, v65, v53
	v_add_f32_e32 v50, v54, v65
	v_fmamk_f32 v15, v2, 0x3f5db3d7, v57
	v_fmac_f32_e32 v57, 0xbf5db3d7, v2
	v_add_f32_e32 v2, v48, v3
	v_fmac_f32_e32 v54, -0.5, v49
	v_sub_f32_e32 v49, v48, v3
	v_add_f32_e32 v48, v55, v48
	v_sub_f32_e32 v51, v65, v53
	v_fmac_f32_e32 v55, -0.5, v2
	v_add_f32_e32 v13, v13, v52
	v_add_f32_e32 v2, v50, v53
	v_fmamk_f32 v52, v49, 0xbf5db3d7, v54
	v_fmac_f32_e32 v54, 0x3f5db3d7, v49
	v_add_f32_e32 v3, v48, v3
	v_fmamk_f32 v53, v51, 0x3f5db3d7, v55
	v_fmac_f32_e32 v55, 0xbf5db3d7, v51
	s_barrier
	buffer_gl0_inv
	ds_write2_b64 v107, v[4:5], v[6:7] offset1:10
	ds_write_b64 v107, v[0:1] offset:160
	ds_write2_b64 v106, v[8:9], v[10:11] offset1:10
	ds_write_b64 v106, v[62:63] offset:160
	;; [unrolled: 2-line block ×3, first 2 shown]
	s_and_saveexec_b32 s0, vcc_lo
	s_cbranch_execz .LBB0_17
; %bb.16:
	v_lshl_add_u32 v0, v108, 3, v101
	ds_write2_b64 v0, v[2:3], v[52:53] offset0:240 offset1:250
	ds_write_b64 v0, v[54:55] offset:2080
.LBB0_17:
	s_or_b32 exec_lo, exec_lo, s0
	s_waitcnt lgkmcnt(0)
	s_barrier
	buffer_gl0_inv
	ds_read2_b64 v[8:11], v100 offset1:27
	ds_read2_b64 v[4:7], v100 offset0:54 offset1:90
	ds_read2_b64 v[48:51], v100 offset0:180 offset1:207
	;; [unrolled: 1-line block ×3, first 2 shown]
	ds_read_b64 v[0:1], v100 offset:1872
	s_and_saveexec_b32 s0, vcc_lo
	s_cbranch_execz .LBB0_19
; %bb.18:
	v_add_nc_u32_e32 v52, 0x400, v100
	ds_read_b64 v[2:3], v93 offset:648
	ds_read2_b64 v[52:55], v52 offset0:43 offset1:133
.LBB0_19:
	s_or_b32 exec_lo, exec_lo, s0
	s_waitcnt lgkmcnt(3)
	v_mul_f32_e32 v56, v25, v7
	v_mul_f32_e32 v25, v25, v6
	s_waitcnt lgkmcnt(2)
	v_mul_f32_e32 v57, v27, v49
	v_mul_f32_e32 v27, v27, v48
	s_waitcnt lgkmcnt(0)
	v_fmac_f32_e32 v56, v24, v6
	v_fma_f32 v7, v24, v7, -v25
	v_mul_f32_e32 v24, v33, v13
	v_mul_f32_e32 v6, v33, v12
	v_fmac_f32_e32 v57, v26, v48
	v_fma_f32 v25, v26, v49, -v27
	v_mul_f32_e32 v26, v35, v51
	v_fmac_f32_e32 v24, v32, v12
	v_mul_f32_e32 v12, v35, v50
	v_fma_f32 v27, v32, v13, -v6
	v_mul_f32_e32 v32, v29, v15
	v_mul_f32_e32 v6, v29, v14
	;; [unrolled: 1-line block ×3, first 2 shown]
	v_fma_f32 v29, v34, v51, -v12
	v_mul_f32_e32 v12, v31, v0
	v_fmac_f32_e32 v32, v28, v14
	v_fma_f32 v28, v28, v15, -v6
	v_mul_f32_e32 v6, v23, v54
	v_fmac_f32_e32 v26, v34, v50
	v_fma_f32 v1, v30, v1, -v12
	v_add_f32_e32 v12, v56, v57
	v_sub_f32_e32 v15, v7, v25
	v_fma_f32 v34, v22, v55, -v6
	v_mul_f32_e32 v31, v21, v53
	v_fmac_f32_e32 v33, v30, v0
	v_fma_f32 v6, -0.5, v12, v8
	v_mul_f32_e32 v0, v21, v52
	v_mul_f32_e32 v30, v23, v55
	v_add_f32_e32 v13, v8, v56
	v_add_f32_e32 v14, v7, v25
	v_fmamk_f32 v12, v15, 0xbf5db3d7, v6
	v_fmac_f32_e32 v6, 0x3f5db3d7, v15
	v_add_f32_e32 v15, v24, v26
	v_fmac_f32_e32 v31, v20, v52
	v_fma_f32 v0, v20, v53, -v0
	v_fmac_f32_e32 v30, v22, v54
	v_add_f32_e32 v8, v13, v57
	v_add_f32_e32 v13, v9, v7
	v_fma_f32 v7, -0.5, v14, v9
	v_sub_f32_e32 v14, v56, v57
	v_add_f32_e32 v20, v10, v24
	v_add_f32_e32 v21, v27, v29
	v_fma_f32 v10, -0.5, v15, v10
	v_sub_f32_e32 v15, v27, v29
	v_add_f32_e32 v22, v11, v27
	v_add_f32_e32 v9, v13, v25
	v_fmamk_f32 v13, v14, 0x3f5db3d7, v7
	v_fmac_f32_e32 v7, 0xbf5db3d7, v14
	v_add_f32_e32 v14, v20, v26
	v_fmac_f32_e32 v11, -0.5, v21
	v_sub_f32_e32 v23, v24, v26
	v_fmamk_f32 v20, v15, 0xbf5db3d7, v10
	v_fmac_f32_e32 v10, 0x3f5db3d7, v15
	v_add_f32_e32 v15, v22, v29
	v_add_f32_e32 v22, v32, v33
	v_add_f32_e32 v24, v4, v32
	v_fmamk_f32 v21, v23, 0x3f5db3d7, v11
	v_fmac_f32_e32 v11, 0xbf5db3d7, v23
	v_add_f32_e32 v23, v28, v1
	v_fma_f32 v4, -0.5, v22, v4
	v_add_f32_e32 v22, v24, v33
	v_add_f32_e32 v24, v5, v28
	v_sub_f32_e32 v25, v28, v1
	v_fmac_f32_e32 v5, -0.5, v23
	v_sub_f32_e32 v28, v32, v33
	v_sub_f32_e32 v29, v31, v30
	v_add_f32_e32 v23, v24, v1
	v_add_f32_e32 v1, v31, v30
	v_add_f32_e32 v24, v0, v34
	v_fmamk_f32 v26, v25, 0xbf5db3d7, v4
	v_fmac_f32_e32 v4, 0x3f5db3d7, v25
	v_fmamk_f32 v27, v28, 0x3f5db3d7, v5
	v_fmac_f32_e32 v5, 0xbf5db3d7, v28
	v_add_f32_e32 v25, v2, v31
	v_fmac_f32_e32 v2, -0.5, v1
	v_sub_f32_e32 v1, v0, v34
	v_add_f32_e32 v28, v3, v0
	v_fmac_f32_e32 v3, -0.5, v24
	v_add_f32_e32 v24, v25, v30
	s_barrier
	v_fmamk_f32 v0, v1, 0xbf5db3d7, v2
	v_fmac_f32_e32 v2, 0x3f5db3d7, v1
	v_add_f32_e32 v25, v28, v34
	v_fmamk_f32 v1, v29, 0x3f5db3d7, v3
	v_fmac_f32_e32 v3, 0xbf5db3d7, v29
	buffer_gl0_inv
	ds_write2_b64 v100, v[8:9], v[12:13] offset1:30
	ds_write_b64 v100, v[6:7] offset:480
	ds_write2_b64 v110, v[14:15], v[20:21] offset1:30
	ds_write_b64 v110, v[10:11] offset:480
	;; [unrolled: 2-line block ×3, first 2 shown]
	s_and_saveexec_b32 s0, vcc_lo
	s_cbranch_execz .LBB0_21
; %bb.20:
	v_lshl_add_u32 v4, v104, 3, v101
	ds_write2_b64 v4, v[24:25], v[0:1] offset0:180 offset1:210
	ds_write_b64 v4, v[2:3] offset:1920
.LBB0_21:
	s_or_b32 exec_lo, exec_lo, s0
	s_waitcnt lgkmcnt(0)
	s_barrier
	buffer_gl0_inv
	ds_read2_b64 v[8:11], v100 offset1:27
	ds_read2_b64 v[4:7], v100 offset0:54 offset1:90
	ds_read2_b64 v[20:23], v100 offset0:180 offset1:207
	;; [unrolled: 1-line block ×3, first 2 shown]
	ds_read_b64 v[26:27], v100 offset:1872
	v_add_nc_u32_e32 v28, 0x1b0, v100
	s_and_saveexec_b32 s0, vcc_lo
	s_cbranch_execz .LBB0_23
; %bb.22:
	v_add_nc_u32_e32 v0, 0x400, v100
	ds_read_b64 v[24:25], v93 offset:648
	ds_read2_b64 v[0:3], v0 offset0:43 offset1:133
.LBB0_23:
	s_or_b32 exec_lo, exec_lo, s0
	s_waitcnt lgkmcnt(3)
	v_mul_f32_e32 v29, v37, v7
	v_mul_f32_e32 v30, v37, v6
	s_waitcnt lgkmcnt(2)
	v_mul_f32_e32 v31, v39, v21
	v_mul_f32_e32 v32, v39, v20
	s_waitcnt lgkmcnt(1)
	v_mul_f32_e32 v33, v41, v15
	v_fmac_f32_e32 v29, v36, v6
	v_fma_f32 v7, v36, v7, -v30
	v_mul_f32_e32 v30, v45, v13
	v_mul_f32_e32 v6, v45, v12
	v_fmac_f32_e32 v31, v38, v20
	v_fma_f32 v20, v38, v21, -v32
	v_mul_f32_e32 v21, v47, v23
	v_fmac_f32_e32 v30, v44, v12
	v_mul_f32_e32 v12, v47, v22
	v_fma_f32 v32, v44, v13, -v6
	v_mul_f32_e32 v6, v41, v14
	v_fmac_f32_e32 v21, v46, v22
	v_fmac_f32_e32 v33, v40, v14
	v_fma_f32 v22, v46, v23, -v12
	s_waitcnt lgkmcnt(0)
	v_mul_f32_e32 v12, v43, v26
	v_fma_f32 v34, v40, v15, -v6
	v_add_f32_e32 v6, v29, v31
	v_mul_f32_e32 v23, v43, v27
	v_add_f32_e32 v13, v8, v29
	v_fma_f32 v27, v42, v27, -v12
	v_add_f32_e32 v12, v7, v20
	v_fma_f32 v6, -0.5, v6, v8
	v_sub_f32_e32 v14, v7, v20
	v_add_f32_e32 v8, v13, v31
	v_add_f32_e32 v13, v9, v7
	v_fma_f32 v7, -0.5, v12, v9
	v_sub_f32_e32 v15, v29, v31
	v_fmamk_f32 v12, v14, 0xbf5db3d7, v6
	v_fmac_f32_e32 v6, 0x3f5db3d7, v14
	v_add_f32_e32 v14, v30, v21
	v_fmac_f32_e32 v23, v42, v26
	v_add_f32_e32 v9, v13, v20
	v_fmamk_f32 v13, v15, 0x3f5db3d7, v7
	v_add_f32_e32 v20, v10, v30
	v_fmac_f32_e32 v7, 0xbf5db3d7, v15
	v_add_f32_e32 v15, v32, v22
	v_fma_f32 v10, -0.5, v14, v10
	v_sub_f32_e32 v26, v32, v22
	v_add_f32_e32 v29, v11, v32
	v_add_f32_e32 v14, v20, v21
	v_fmac_f32_e32 v11, -0.5, v15
	v_sub_f32_e32 v30, v30, v21
	v_fmamk_f32 v20, v26, 0xbf5db3d7, v10
	v_fmac_f32_e32 v10, 0x3f5db3d7, v26
	v_add_f32_e32 v15, v29, v22
	v_add_f32_e32 v22, v33, v23
	;; [unrolled: 1-line block ×3, first 2 shown]
	v_fmamk_f32 v21, v30, 0x3f5db3d7, v11
	v_fmac_f32_e32 v11, 0xbf5db3d7, v30
	v_add_f32_e32 v29, v4, v33
	v_fma_f32 v4, -0.5, v22, v4
	v_sub_f32_e32 v30, v34, v27
	v_add_f32_e32 v31, v5, v34
	v_fmac_f32_e32 v5, -0.5, v26
	v_sub_f32_e32 v32, v33, v23
	v_add_f32_e32 v22, v29, v23
	v_fmamk_f32 v26, v30, 0xbf5db3d7, v4
	v_fmac_f32_e32 v4, 0x3f5db3d7, v30
	v_add_f32_e32 v23, v31, v27
	v_fmamk_f32 v27, v32, 0x3f5db3d7, v5
	v_fmac_f32_e32 v5, 0xbf5db3d7, v32
	ds_write_b64 v100, v[8:9]
	ds_write_b64 v93, v[12:13] offset:720
	ds_write_b64 v93, v[6:7] offset:1440
	;; [unrolled: 1-line block ×6, first 2 shown]
	ds_write2_b64 v28, v[26:27], v[4:5] offset0:90 offset1:180
	s_and_saveexec_b32 s0, vcc_lo
	s_cbranch_execz .LBB0_25
; %bb.24:
	v_mul_f32_e32 v4, v17, v0
	v_mul_f32_e32 v5, v19, v2
	;; [unrolled: 1-line block ×4, first 2 shown]
	v_fma_f32 v4, v16, v1, -v4
	v_fma_f32 v3, v18, v3, -v5
	v_fmac_f32_e32 v6, v16, v0
	v_fmac_f32_e32 v7, v18, v2
	v_add_f32_e32 v5, v25, v4
	v_add_f32_e32 v0, v4, v3
	v_sub_f32_e32 v9, v4, v3
	v_add_f32_e32 v2, v6, v7
	v_sub_f32_e32 v8, v6, v7
	v_add_f32_e32 v3, v5, v3
	v_fma_f32 v1, -0.5, v0, v25
	v_fma_f32 v0, -0.5, v2, v24
	v_add_f32_e32 v2, v24, v6
	v_add_nc_u32_e32 v6, 0x400, v93
	v_fmamk_f32 v5, v8, 0xbf5db3d7, v1
	v_fmac_f32_e32 v1, 0x3f5db3d7, v8
	v_fmamk_f32 v4, v9, 0x3f5db3d7, v0
	v_add_f32_e32 v2, v2, v7
	v_fmac_f32_e32 v0, 0xbf5db3d7, v9
	ds_write_b64 v93, v[2:3] offset:648
	ds_write2_b64 v6, v[0:1], v[4:5] offset0:43 offset1:133
.LBB0_25:
	s_or_b32 exec_lo, exec_lo, s0
	s_waitcnt lgkmcnt(0)
	s_barrier
	buffer_gl0_inv
	ds_read2_b64 v[0:3], v100 offset1:27
	ds_read_b64 v[16:17], v93 offset:648
	ds_read2_b64 v[4:7], v100 offset0:54 offset1:108
	v_mad_u64_u32 v[12:13], null, s10, v72, 0
	v_mad_u64_u32 v[14:15], null, s8, v99, 0
	s_mov_b32 s0, 0xc901e574
	s_mov_b32 s1, 0x3f6e573a
	s_mul_i32 s5, s9, 0xd8
	s_mul_hi_u32 s6, s8, 0xd8
	s_mul_i32 s4, s8, 0xd8
	s_add_i32 s6, s6, s5
	v_mad_u64_u32 v[28:29], null, s11, v72, v[13:14]
	s_waitcnt lgkmcnt(2)
	v_mul_f32_e32 v8, v92, v1
	v_mul_f32_e32 v9, v92, v0
	;; [unrolled: 1-line block ×4, first 2 shown]
	s_waitcnt lgkmcnt(1)
	v_mad_u64_u32 v[29:30], null, s9, v99, v[15:16]
	v_fmac_f32_e32 v8, v91, v0
	v_fma_f32 v0, v91, v1, -v9
	v_fma_f32 v1, v89, v3, -v11
	v_fmac_f32_e32 v10, v89, v2
	s_waitcnt lgkmcnt(0)
	v_mul_f32_e32 v30, v74, v5
	v_cvt_f64_f32_e32 v[18:19], v8
	v_cvt_f64_f32_e32 v[20:21], v0
	v_cvt_f64_f32_e32 v[24:25], v1
	v_cvt_f64_f32_e32 v[22:23], v10
	v_mul_f32_e32 v31, v74, v4
	v_mul_f32_e32 v33, v80, v16
	;; [unrolled: 1-line block ×3, first 2 shown]
	v_mov_b32_e32 v13, v28
	v_fmac_f32_e32 v30, v73, v4
	v_fma_f32 v28, v73, v5, -v31
	v_fma_f32 v31, v79, v17, -v33
	v_fmac_f32_e32 v32, v79, v16
	v_lshlrev_b64 v[4:5], 3, v[12:13]
	v_cvt_f64_f32_e32 v[12:13], v30
	ds_read2_b64 v[0:3], v100 offset0:135 offset1:162
	ds_read2_b64 v[8:11], v100 offset0:189 offset1:216
	ds_read_b64 v[26:27], v100 offset:1944
	v_cvt_f64_f32_e32 v[30:31], v31
	v_mov_b32_e32 v15, v29
	v_cvt_f64_f32_e32 v[16:17], v28
	v_cvt_f64_f32_e32 v[28:29], v32
	v_mul_f32_e32 v34, v76, v7
	v_mul_f32_e32 v32, v76, v6
	v_lshlrev_b64 v[14:15], 3, v[14:15]
	v_mul_f64 v[18:19], v[18:19], s[0:1]
	v_mul_f64 v[20:21], v[20:21], s[0:1]
	;; [unrolled: 1-line block ×4, first 2 shown]
	v_add_co_u32 v4, vcc_lo, s2, v4
	v_fmac_f32_e32 v34, v75, v6
	v_add_co_ci_u32_e32 v5, vcc_lo, s3, v5, vcc_lo
	v_fma_f32 v32, v75, v7, -v32
	v_add_co_u32 v4, vcc_lo, v4, v14
	s_waitcnt lgkmcnt(2)
	v_mul_f32_e32 v33, v84, v2
	s_waitcnt lgkmcnt(1)
	v_mul_f32_e32 v36, v86, v11
	v_mul_f32_e32 v37, v86, v10
	v_add_co_ci_u32_e32 v5, vcc_lo, v5, v15, vcc_lo
	v_mul_f64 v[6:7], v[16:17], s[0:1]
	v_mul_f64 v[16:17], v[28:29], s[0:1]
	v_cvt_f64_f32_e32 v[28:29], v32
	v_mul_f32_e32 v32, v84, v3
	v_mul_f64 v[12:13], v[12:13], s[0:1]
	v_cvt_f32_f64_e32 v14, v[18:19]
	v_cvt_f32_f64_e32 v15, v[20:21]
	;; [unrolled: 1-line block ×3, first 2 shown]
	v_cvt_f64_f32_e32 v[24:25], v34
	v_mul_f32_e32 v34, v82, v9
	v_cvt_f32_f64_e32 v18, v[22:23]
	v_mul_f64 v[22:23], v[30:31], s[0:1]
	v_mul_f32_e32 v30, v78, v1
	v_mul_f32_e32 v31, v78, v0
	v_fmac_f32_e32 v34, v81, v8
	v_mul_f32_e32 v8, v82, v8
	s_waitcnt lgkmcnt(0)
	v_mul_f32_e32 v38, v88, v27
	v_fmac_f32_e32 v30, v77, v0
	v_fma_f32 v31, v77, v1, -v31
	v_mul_f32_e32 v39, v88, v26
	v_fmac_f32_e32 v32, v83, v2
	v_fma_f32 v33, v83, v3, -v33
	v_fma_f32 v8, v81, v9, -v8
	v_fmac_f32_e32 v36, v85, v10
	v_fma_f32 v37, v85, v11, -v37
	v_cvt_f64_f32_e32 v[0:1], v30
	v_cvt_f64_f32_e32 v[2:3], v31
	v_fmac_f32_e32 v38, v87, v26
	v_fma_f32 v39, v87, v27, -v39
	v_cvt_f64_f32_e32 v[30:31], v32
	v_cvt_f64_f32_e32 v[32:33], v33
	;; [unrolled: 1-line block ×8, first 2 shown]
	v_add_co_u32 v20, vcc_lo, v4, s4
	v_add_co_ci_u32_e32 v21, vcc_lo, s6, v5, vcc_lo
	global_store_dwordx2 v[4:5], v[14:15], off
	global_store_dwordx2 v[20:21], v[18:19], off
	v_cvt_f32_f64_e32 v4, v[12:13]
	v_cvt_f32_f64_e32 v5, v[6:7]
	v_mul_f64 v[6:7], v[24:25], s[0:1]
	v_mul_f64 v[12:13], v[28:29], s[0:1]
	v_add_co_u32 v14, vcc_lo, v20, s4
	v_mul_f64 v[0:1], v[0:1], s[0:1]
	v_mul_f64 v[2:3], v[2:3], s[0:1]
	v_add_co_ci_u32_e32 v15, vcc_lo, s6, v21, vcc_lo
	v_mul_f64 v[18:19], v[30:31], s[0:1]
	v_mul_f64 v[20:21], v[32:33], s[0:1]
	v_cvt_f32_f64_e32 v16, v[16:17]
	v_cvt_f32_f64_e32 v17, v[22:23]
	v_mul_f64 v[22:23], v[34:35], s[0:1]
	v_mul_f64 v[8:9], v[8:9], s[0:1]
	;; [unrolled: 1-line block ×6, first 2 shown]
	v_add_co_u32 v30, vcc_lo, v14, s4
	v_add_co_ci_u32_e32 v31, vcc_lo, s6, v15, vcc_lo
	v_cvt_f32_f64_e32 v6, v[6:7]
	v_cvt_f32_f64_e32 v7, v[12:13]
	v_add_co_u32 v12, vcc_lo, v30, s4
	v_add_co_ci_u32_e32 v13, vcc_lo, s6, v31, vcc_lo
	v_cvt_f32_f64_e32 v0, v[0:1]
	v_cvt_f32_f64_e32 v1, v[2:3]
	;; [unrolled: 4-line block ×3, first 2 shown]
	v_cvt_f32_f64_e32 v20, v[22:23]
	v_cvt_f32_f64_e32 v21, v[8:9]
	;; [unrolled: 1-line block ×6, first 2 shown]
	v_add_co_u32 v22, vcc_lo, v2, s4
	v_add_co_ci_u32_e32 v23, vcc_lo, s6, v3, vcc_lo
	global_store_dwordx2 v[14:15], v[4:5], off
	v_add_co_u32 v4, vcc_lo, v22, s4
	v_add_co_ci_u32_e32 v5, vcc_lo, s6, v23, vcc_lo
	global_store_dwordx2 v[30:31], v[16:17], off
	;; [unrolled: 3-line block ×4, first 2 shown]
	global_store_dwordx2 v[22:23], v[18:19], off
	global_store_dwordx2 v[4:5], v[20:21], off
	;; [unrolled: 1-line block ×4, first 2 shown]
.LBB0_26:
	s_endpgm
	.section	.rodata,"a",@progbits
	.p2align	6, 0x0
	.amdhsa_kernel bluestein_single_fwd_len270_dim1_sp_op_CI_CI
		.amdhsa_group_segment_fixed_size 8640
		.amdhsa_private_segment_fixed_size 0
		.amdhsa_kernarg_size 104
		.amdhsa_user_sgpr_count 6
		.amdhsa_user_sgpr_private_segment_buffer 1
		.amdhsa_user_sgpr_dispatch_ptr 0
		.amdhsa_user_sgpr_queue_ptr 0
		.amdhsa_user_sgpr_kernarg_segment_ptr 1
		.amdhsa_user_sgpr_dispatch_id 0
		.amdhsa_user_sgpr_flat_scratch_init 0
		.amdhsa_user_sgpr_private_segment_size 0
		.amdhsa_wavefront_size32 1
		.amdhsa_uses_dynamic_stack 0
		.amdhsa_system_sgpr_private_segment_wavefront_offset 0
		.amdhsa_system_sgpr_workgroup_id_x 1
		.amdhsa_system_sgpr_workgroup_id_y 0
		.amdhsa_system_sgpr_workgroup_id_z 0
		.amdhsa_system_sgpr_workgroup_info 0
		.amdhsa_system_vgpr_workitem_id 0
		.amdhsa_next_free_vgpr 137
		.amdhsa_next_free_sgpr 20
		.amdhsa_reserve_vcc 1
		.amdhsa_reserve_flat_scratch 0
		.amdhsa_float_round_mode_32 0
		.amdhsa_float_round_mode_16_64 0
		.amdhsa_float_denorm_mode_32 3
		.amdhsa_float_denorm_mode_16_64 3
		.amdhsa_dx10_clamp 1
		.amdhsa_ieee_mode 1
		.amdhsa_fp16_overflow 0
		.amdhsa_workgroup_processor_mode 1
		.amdhsa_memory_ordered 1
		.amdhsa_forward_progress 0
		.amdhsa_shared_vgpr_count 0
		.amdhsa_exception_fp_ieee_invalid_op 0
		.amdhsa_exception_fp_denorm_src 0
		.amdhsa_exception_fp_ieee_div_zero 0
		.amdhsa_exception_fp_ieee_overflow 0
		.amdhsa_exception_fp_ieee_underflow 0
		.amdhsa_exception_fp_ieee_inexact 0
		.amdhsa_exception_int_div_zero 0
	.end_amdhsa_kernel
	.text
.Lfunc_end0:
	.size	bluestein_single_fwd_len270_dim1_sp_op_CI_CI, .Lfunc_end0-bluestein_single_fwd_len270_dim1_sp_op_CI_CI
                                        ; -- End function
	.section	.AMDGPU.csdata,"",@progbits
; Kernel info:
; codeLenInByte = 9096
; NumSgprs: 22
; NumVgprs: 137
; ScratchSize: 0
; MemoryBound: 0
; FloatMode: 240
; IeeeMode: 1
; LDSByteSize: 8640 bytes/workgroup (compile time only)
; SGPRBlocks: 2
; VGPRBlocks: 17
; NumSGPRsForWavesPerEU: 22
; NumVGPRsForWavesPerEU: 137
; Occupancy: 7
; WaveLimiterHint : 1
; COMPUTE_PGM_RSRC2:SCRATCH_EN: 0
; COMPUTE_PGM_RSRC2:USER_SGPR: 6
; COMPUTE_PGM_RSRC2:TRAP_HANDLER: 0
; COMPUTE_PGM_RSRC2:TGID_X_EN: 1
; COMPUTE_PGM_RSRC2:TGID_Y_EN: 0
; COMPUTE_PGM_RSRC2:TGID_Z_EN: 0
; COMPUTE_PGM_RSRC2:TIDIG_COMP_CNT: 0
	.text
	.p2alignl 6, 3214868480
	.fill 48, 4, 3214868480
	.type	__hip_cuid_6875454ed5a8cd57,@object ; @__hip_cuid_6875454ed5a8cd57
	.section	.bss,"aw",@nobits
	.globl	__hip_cuid_6875454ed5a8cd57
__hip_cuid_6875454ed5a8cd57:
	.byte	0                               ; 0x0
	.size	__hip_cuid_6875454ed5a8cd57, 1

	.ident	"AMD clang version 19.0.0git (https://github.com/RadeonOpenCompute/llvm-project roc-6.4.0 25133 c7fe45cf4b819c5991fe208aaa96edf142730f1d)"
	.section	".note.GNU-stack","",@progbits
	.addrsig
	.addrsig_sym __hip_cuid_6875454ed5a8cd57
	.amdgpu_metadata
---
amdhsa.kernels:
  - .args:
      - .actual_access:  read_only
        .address_space:  global
        .offset:         0
        .size:           8
        .value_kind:     global_buffer
      - .actual_access:  read_only
        .address_space:  global
        .offset:         8
        .size:           8
        .value_kind:     global_buffer
      - .actual_access:  read_only
        .address_space:  global
        .offset:         16
        .size:           8
        .value_kind:     global_buffer
      - .actual_access:  read_only
        .address_space:  global
        .offset:         24
        .size:           8
        .value_kind:     global_buffer
      - .actual_access:  read_only
        .address_space:  global
        .offset:         32
        .size:           8
        .value_kind:     global_buffer
      - .offset:         40
        .size:           8
        .value_kind:     by_value
      - .address_space:  global
        .offset:         48
        .size:           8
        .value_kind:     global_buffer
      - .address_space:  global
        .offset:         56
        .size:           8
        .value_kind:     global_buffer
      - .address_space:  global
        .offset:         64
        .size:           8
        .value_kind:     global_buffer
      - .address_space:  global
        .offset:         72
        .size:           8
        .value_kind:     global_buffer
      - .offset:         80
        .size:           4
        .value_kind:     by_value
      - .address_space:  global
        .offset:         88
        .size:           8
        .value_kind:     global_buffer
      - .address_space:  global
        .offset:         96
        .size:           8
        .value_kind:     global_buffer
    .group_segment_fixed_size: 8640
    .kernarg_segment_align: 8
    .kernarg_segment_size: 104
    .language:       OpenCL C
    .language_version:
      - 2
      - 0
    .max_flat_workgroup_size: 108
    .name:           bluestein_single_fwd_len270_dim1_sp_op_CI_CI
    .private_segment_fixed_size: 0
    .sgpr_count:     22
    .sgpr_spill_count: 0
    .symbol:         bluestein_single_fwd_len270_dim1_sp_op_CI_CI.kd
    .uniform_work_group_size: 1
    .uses_dynamic_stack: false
    .vgpr_count:     137
    .vgpr_spill_count: 0
    .wavefront_size: 32
    .workgroup_processor_mode: 1
amdhsa.target:   amdgcn-amd-amdhsa--gfx1030
amdhsa.version:
  - 1
  - 2
...

	.end_amdgpu_metadata
